;; amdgpu-corpus repo=zjin-lcf/HeCBench kind=compiled arch=gfx1030 opt=O3
	.amdgcn_target "amdgcn-amd-amdhsa--gfx1030"
	.amdhsa_code_object_version 6
	.text
	.protected	_Z9make_backPK11dsu3_matrixS1_PKmS3_PS_S4_i ; -- Begin function _Z9make_backPK11dsu3_matrixS1_PKmS3_PS_S4_i
	.globl	_Z9make_backPK11dsu3_matrixS1_PKmS3_PS_S4_i
	.p2align	8
	.type	_Z9make_backPK11dsu3_matrixS1_PKmS3_PS_S4_i,@function
_Z9make_backPK11dsu3_matrixS1_PKmS3_PS_S4_i: ; @_Z9make_backPK11dsu3_matrixS1_PKmS3_PS_S4_i
; %bb.0:
	s_clause 0x1
	s_load_dword s1, s[4:5], 0x44
	s_load_dword s0, s[4:5], 0x30
	s_waitcnt lgkmcnt(0)
	s_and_b32 s1, s1, 0xffff
	v_mad_u64_u32 v[4:5], null, s6, s1, v[0:1]
	v_mov_b32_e32 v5, 0
	s_ashr_i32 s1, s0, 31
	v_cmp_gt_u64_e32 vcc_lo, s[0:1], v[4:5]
	s_and_saveexec_b32 s0, vcc_lo
	s_cbranch_execz .LBB0_3
; %bb.1:
	s_clause 0x1
	s_load_dwordx4 s[8:11], s[4:5], 0x20
	s_load_dwordx8 s[0:7], s[4:5], 0x0
	v_lshlrev_b32_e32 v2, 2, v4
	v_lshlrev_b64 v[6:7], 5, v[4:5]
	v_lshrrev_b32_e32 v8, 30, v4
	s_waitcnt lgkmcnt(0)
	v_mad_u64_u32 v[0:1], null, 0x90, v2, s[8:9]
	v_mad_u64_u32 v[2:3], null, 0x90, v2, s[10:11]
	v_add_co_u32 v4, vcc_lo, s6, v6
	v_add_co_ci_u32_e64 v5, null, s7, v7, vcc_lo
	v_add_co_u32 v6, vcc_lo, s4, v6
	v_mad_u32_u24 v1, 0x90, v8, v1
	v_mad_u32_u24 v3, 0x90, v8, v3
	v_add_co_ci_u32_e64 v7, null, s5, v7, vcc_lo
	s_mov_b64 s[4:5], 0
.LBB0_2:                                ; =>This Inner Loop Header: Depth=1
	global_load_dwordx2 v[8:9], v[6:7], off
	global_load_dwordx2 v[10:11], v[4:5], off
	s_add_u32 s6, s0, s4
	s_addc_u32 s7, s1, s5
	s_add_u32 s8, s2, s4
	s_addc_u32 s9, s3, s5
	v_add_co_u32 v56, vcc_lo, v0, s4
	v_add_co_ci_u32_e64 v57, null, s5, v1, vcc_lo
	s_waitcnt vmcnt(1)
	v_mad_u64_u32 v[40:41], null, 0x240, v8, s[6:7]
	s_waitcnt vmcnt(0)
	v_mad_u64_u32 v[58:59], null, 0x240, v10, s[8:9]
	v_mov_b32_e32 v8, v41
	v_mov_b32_e32 v10, v59
	v_mad_u64_u32 v[8:9], null, 0x240, v9, v[8:9]
	v_mad_u64_u32 v[9:10], null, 0x240, v11, v[10:11]
	v_mov_b32_e32 v41, v8
	v_mov_b32_e32 v59, v9
	s_clause 0x8
	global_load_dwordx4 v[8:11], v[40:41], off
	global_load_dwordx4 v[12:15], v[40:41], off offset:48
	global_load_dwordx4 v[16:19], v[40:41], off offset:96
	;; [unrolled: 1-line block ×8, first 2 shown]
	s_clause 0x2
	global_load_dwordx4 v[44:47], v[58:59], off offset:16
	global_load_dwordx4 v[48:51], v[58:59], off offset:32
	;; [unrolled: 1-line block ×3, first 2 shown]
	s_waitcnt vmcnt(11)
	v_xor_b32_e32 v11, 0x80000000, v11
	s_waitcnt vmcnt(10)
	v_xor_b32_e32 v15, 0x80000000, v15
	;; [unrolled: 2-line block ×6, first 2 shown]
	global_store_dwordx4 v[56:57], v[8:11], off
	global_load_dwordx4 v[8:11], v[58:59], off
	global_store_dwordx4 v[56:57], v[12:15], off offset:16
	global_load_dwordx4 v[12:15], v[58:59], off offset:80
	global_store_dwordx4 v[56:57], v[16:19], off offset:32
	global_load_dwordx4 v[16:19], v[58:59], off offset:112
	;; [unrolled: 2-line block ×5, first 2 shown]
	v_add_co_u32 v58, vcc_lo, v2, s4
	v_add_co_ci_u32_e64 v59, null, s5, v3, vcc_lo
	v_add_co_u32 v4, vcc_lo, v4, 8
	v_add_co_ci_u32_e64 v5, null, 0, v5, vcc_lo
	;; [unrolled: 2-line block ×3, first 2 shown]
	s_waitcnt vmcnt(11)
	v_xor_b32_e32 v35, 0x80000000, v35
	s_add_u32 s4, s4, 0x90
	s_waitcnt vmcnt(10)
	v_xor_b32_e32 v39, 0x80000000, v39
	s_addc_u32 s5, s5, 0
	s_waitcnt vmcnt(9)
	v_xor_b32_e32 v43, 0x80000000, v43
	s_cmpk_lg_i32 s4, 0x240
	s_waitcnt vmcnt(6)
	v_xor_b32_e32 v55, 0x80000000, v55
	v_xor_b32_e32 v47, 0x80000000, v47
	;; [unrolled: 1-line block ×3, first 2 shown]
	s_waitcnt vmcnt(5)
	v_xor_b32_e32 v11, 0x80000000, v11
	s_waitcnt vmcnt(4)
	v_xor_b32_e32 v15, 0x80000000, v15
	;; [unrolled: 2-line block ×6, first 2 shown]
	global_store_dwordx4 v[56:57], v[32:35], off offset:96
	global_store_dwordx4 v[56:57], v[36:39], off offset:112
	;; [unrolled: 1-line block ×3, first 2 shown]
	global_store_dwordx4 v[58:59], v[8:11], off
	global_store_dwordx4 v[58:59], v[52:55], off offset:16
	global_store_dwordx4 v[58:59], v[24:27], off offset:32
	;; [unrolled: 1-line block ×8, first 2 shown]
	s_cbranch_scc1 .LBB0_2
.LBB0_3:
	s_endpgm
	.section	.rodata,"a",@progbits
	.p2align	6, 0x0
	.amdhsa_kernel _Z9make_backPK11dsu3_matrixS1_PKmS3_PS_S4_i
		.amdhsa_group_segment_fixed_size 0
		.amdhsa_private_segment_fixed_size 0
		.amdhsa_kernarg_size 312
		.amdhsa_user_sgpr_count 6
		.amdhsa_user_sgpr_private_segment_buffer 1
		.amdhsa_user_sgpr_dispatch_ptr 0
		.amdhsa_user_sgpr_queue_ptr 0
		.amdhsa_user_sgpr_kernarg_segment_ptr 1
		.amdhsa_user_sgpr_dispatch_id 0
		.amdhsa_user_sgpr_flat_scratch_init 0
		.amdhsa_user_sgpr_private_segment_size 0
		.amdhsa_wavefront_size32 1
		.amdhsa_uses_dynamic_stack 0
		.amdhsa_system_sgpr_private_segment_wavefront_offset 0
		.amdhsa_system_sgpr_workgroup_id_x 1
		.amdhsa_system_sgpr_workgroup_id_y 0
		.amdhsa_system_sgpr_workgroup_id_z 0
		.amdhsa_system_sgpr_workgroup_info 0
		.amdhsa_system_vgpr_workitem_id 0
		.amdhsa_next_free_vgpr 60
		.amdhsa_next_free_sgpr 12
		.amdhsa_reserve_vcc 1
		.amdhsa_reserve_flat_scratch 0
		.amdhsa_float_round_mode_32 0
		.amdhsa_float_round_mode_16_64 0
		.amdhsa_float_denorm_mode_32 3
		.amdhsa_float_denorm_mode_16_64 3
		.amdhsa_dx10_clamp 1
		.amdhsa_ieee_mode 1
		.amdhsa_fp16_overflow 0
		.amdhsa_workgroup_processor_mode 1
		.amdhsa_memory_ordered 1
		.amdhsa_forward_progress 1
		.amdhsa_shared_vgpr_count 0
		.amdhsa_exception_fp_ieee_invalid_op 0
		.amdhsa_exception_fp_denorm_src 0
		.amdhsa_exception_fp_ieee_div_zero 0
		.amdhsa_exception_fp_ieee_overflow 0
		.amdhsa_exception_fp_ieee_underflow 0
		.amdhsa_exception_fp_ieee_inexact 0
		.amdhsa_exception_int_div_zero 0
	.end_amdhsa_kernel
	.text
.Lfunc_end0:
	.size	_Z9make_backPK11dsu3_matrixS1_PKmS3_PS_S4_i, .Lfunc_end0-_Z9make_backPK11dsu3_matrixS1_PKmS3_PS_S4_i
                                        ; -- End function
	.set _Z9make_backPK11dsu3_matrixS1_PKmS3_PS_S4_i.num_vgpr, 60
	.set _Z9make_backPK11dsu3_matrixS1_PKmS3_PS_S4_i.num_agpr, 0
	.set _Z9make_backPK11dsu3_matrixS1_PKmS3_PS_S4_i.numbered_sgpr, 12
	.set _Z9make_backPK11dsu3_matrixS1_PKmS3_PS_S4_i.num_named_barrier, 0
	.set _Z9make_backPK11dsu3_matrixS1_PKmS3_PS_S4_i.private_seg_size, 0
	.set _Z9make_backPK11dsu3_matrixS1_PKmS3_PS_S4_i.uses_vcc, 1
	.set _Z9make_backPK11dsu3_matrixS1_PKmS3_PS_S4_i.uses_flat_scratch, 0
	.set _Z9make_backPK11dsu3_matrixS1_PKmS3_PS_S4_i.has_dyn_sized_stack, 0
	.set _Z9make_backPK11dsu3_matrixS1_PKmS3_PS_S4_i.has_recursion, 0
	.set _Z9make_backPK11dsu3_matrixS1_PKmS3_PS_S4_i.has_indirect_call, 0
	.section	.AMDGPU.csdata,"",@progbits
; Kernel info:
; codeLenInByte = 880
; TotalNumSgprs: 14
; NumVgprs: 60
; ScratchSize: 0
; MemoryBound: 1
; FloatMode: 240
; IeeeMode: 1
; LDSByteSize: 0 bytes/workgroup (compile time only)
; SGPRBlocks: 0
; VGPRBlocks: 7
; NumSGPRsForWavesPerEU: 14
; NumVGPRsForWavesPerEU: 60
; Occupancy: 16
; WaveLimiterHint : 1
; COMPUTE_PGM_RSRC2:SCRATCH_EN: 0
; COMPUTE_PGM_RSRC2:USER_SGPR: 6
; COMPUTE_PGM_RSRC2:TRAP_HANDLER: 0
; COMPUTE_PGM_RSRC2:TGID_X_EN: 1
; COMPUTE_PGM_RSRC2:TGID_Y_EN: 0
; COMPUTE_PGM_RSRC2:TGID_Z_EN: 0
; COMPUTE_PGM_RSRC2:TIDIG_COMP_CNT: 0
	.text
	.protected	_Z6dslashPK11dsu3_matrixS1_S1_S1_PK11dsu3_vectorPS2_PKmS7_S7_S7_i ; -- Begin function _Z6dslashPK11dsu3_matrixS1_S1_S1_PK11dsu3_vectorPS2_PKmS7_S7_S7_i
	.globl	_Z6dslashPK11dsu3_matrixS1_S1_S1_PK11dsu3_vectorPS2_PKmS7_S7_S7_i
	.p2align	8
	.type	_Z6dslashPK11dsu3_matrixS1_S1_S1_PK11dsu3_vectorPS2_PKmS7_S7_S7_i,@function
_Z6dslashPK11dsu3_matrixS1_S1_S1_PK11dsu3_vectorPS2_PKmS7_S7_S7_i: ; @_Z6dslashPK11dsu3_matrixS1_S1_S1_PK11dsu3_vectorPS2_PKmS7_S7_S7_i
; %bb.0:
	s_clause 0x1
	s_load_dword s1, s[4:5], 0x64
	s_load_dword s0, s[4:5], 0x50
	s_waitcnt lgkmcnt(0)
	s_and_b32 s1, s1, 0xffff
	v_mad_u64_u32 v[12:13], null, s6, s1, v[0:1]
	v_mov_b32_e32 v13, 0
	s_ashr_i32 s1, s0, 31
	v_cmp_gt_u64_e32 vcc_lo, s[0:1], v[12:13]
	s_and_saveexec_b32 s0, vcc_lo
	s_cbranch_execz .LBB1_10
; %bb.1:
	s_load_dwordx8 s[8:15], s[4:5], 0x20
	v_lshlrev_b64 v[14:15], 5, v[12:13]
	s_load_dwordx8 s[16:23], s[4:5], 0x0
	v_lshlrev_b64 v[16:17], 2, v[12:13]
	s_load_dwordx4 s[0:3], s[4:5], 0x40
	s_mov_b64 s[4:5], 0
	s_waitcnt lgkmcnt(0)
	v_add_co_u32 v0, vcc_lo, s12, v14
	v_add_co_ci_u32_e64 v1, null, s13, v15, vcc_lo
	v_mad_u64_u32 v[18:19], null, 0x90, v16, s[16:17]
	v_or_b32_e32 v14, 8, v14
	global_load_dwordx2 v[0:1], v[0:1], off
	s_waitcnt vmcnt(0)
	v_mad_u64_u32 v[44:45], null, v0, 48, s[8:9]
	v_mov_b32_e32 v0, v45
	v_mad_u64_u32 v[0:1], null, v1, 48, v[0:1]
	v_lshrrev_b32_e32 v1, 30, v12
	v_mad_u64_u32 v[12:13], null, v12, 48, s[10:11]
	v_mad_u32_u24 v19, 0x90, v1, v19
	v_mov_b32_e32 v45, v0
	global_load_dwordx4 v[0:3], v[18:19], off
	global_load_dwordx4 v[4:7], v[44:45], off
	s_clause 0x2
	global_load_dwordx4 v[8:11], v[18:19], off offset:48
	global_load_dwordx4 v[20:23], v[18:19], off offset:96
	;; [unrolled: 1-line block ×4, first 2 shown]
	s_clause 0x2
	global_load_dwordx4 v[32:35], v[18:19], off offset:64
	global_load_dwordx4 v[36:39], v[18:19], off offset:112
	;; [unrolled: 1-line block ×4, first 2 shown]
	s_clause 0x1
	global_load_dwordx4 v[48:51], v[18:19], off offset:80
	global_load_dwordx4 v[52:55], v[18:19], off offset:128
	s_waitcnt vmcnt(10)
	v_mul_f64 v[56:57], v[2:3], v[6:7]
	v_mul_f64 v[58:59], v[0:1], v[6:7]
	s_waitcnt vmcnt(9)
	v_mul_f64 v[60:61], v[6:7], v[10:11]
	s_waitcnt vmcnt(8)
	v_mul_f64 v[62:63], v[6:7], v[22:23]
	v_mul_f64 v[22:23], v[4:5], v[22:23]
	;; [unrolled: 1-line block ×3, first 2 shown]
	s_waitcnt vmcnt(6)
	v_mul_f64 v[64:65], v[26:27], v[30:31]
	v_mul_f64 v[66:67], v[24:25], v[30:31]
	s_waitcnt vmcnt(5)
	v_mul_f64 v[68:69], v[30:31], v[34:35]
	v_mul_f64 v[34:35], v[28:29], v[34:35]
	;; [unrolled: 3-line block ×3, first 2 shown]
	v_fma_f64 v[0:1], v[0:1], v[4:5], -v[56:57]
	v_fma_f64 v[2:3], v[4:5], v[2:3], v[58:59]
	v_fma_f64 v[56:57], v[4:5], v[8:9], -v[60:61]
	v_fma_f64 v[4:5], v[4:5], v[20:21], -v[62:63]
	v_fma_f64 v[20:21], v[6:7], v[20:21], v[22:23]
	v_fma_f64 v[6:7], v[6:7], v[8:9], v[10:11]
	s_waitcnt vmcnt(2)
	v_mul_f64 v[8:9], v[42:43], v[46:47]
	v_mul_f64 v[10:11], v[40:41], v[46:47]
	s_waitcnt vmcnt(1)
	v_mul_f64 v[22:23], v[46:47], v[50:51]
	v_mul_f64 v[50:51], v[44:45], v[50:51]
	;; [unrolled: 3-line block ×3, first 2 shown]
	v_fma_f64 v[24:25], v[24:25], v[28:29], -v[64:65]
	v_fma_f64 v[26:27], v[28:29], v[26:27], v[66:67]
	v_fma_f64 v[60:61], v[28:29], v[32:33], -v[68:69]
	v_fma_f64 v[32:33], v[30:31], v[32:33], v[34:35]
	;; [unrolled: 2-line block ×3, first 2 shown]
	v_add_f64 v[0:1], v[0:1], 0
	v_add_f64 v[2:3], v[2:3], 0
	;; [unrolled: 1-line block ×6, first 2 shown]
	v_fma_f64 v[8:9], v[40:41], v[44:45], -v[8:9]
	v_fma_f64 v[10:11], v[44:45], v[42:43], v[10:11]
	v_fma_f64 v[22:23], v[44:45], v[48:49], -v[22:23]
	v_fma_f64 v[36:37], v[46:47], v[48:49], v[50:51]
	;; [unrolled: 2-line block ×3, first 2 shown]
	v_add_f64 v[0:1], v[0:1], v[24:25]
	v_add_f64 v[2:3], v[2:3], v[26:27]
	;; [unrolled: 1-line block ×12, first 2 shown]
	v_add_co_u32 v20, vcc_lo, s12, v14
	v_add_co_ci_u32_e64 v21, null, s13, v15, vcc_lo
	global_store_dwordx4 v[12:13], v[0:3], off offset:32
.LBB1_2:                                ; =>This Inner Loop Header: Depth=1
	global_load_dwordx2 v[33:34], v[20:21], off
	v_add_co_u32 v62, vcc_lo, v18, s4
	v_add_co_ci_u32_e64 v63, null, s5, v19, vcc_lo
	v_add_co_u32 v20, vcc_lo, v20, 8
	s_add_u32 s4, s4, 0x90
	global_load_dwordx4 v[22:25], v[62:63], off offset:192
	v_add_co_ci_u32_e64 v21, null, 0, v21, vcc_lo
	s_addc_u32 s5, s5, 0
	s_cmp_eq_u64 s[4:5], 0x1b0
	s_waitcnt vmcnt(1)
	v_mad_u64_u32 v[66:67], null, v33, 48, s[8:9]
	s_clause 0x1
	global_load_dwordx4 v[26:29], v[62:63], off offset:160
	global_load_dwordx4 v[30:33], v[62:63], off offset:144
	v_mov_b32_e32 v35, v67
	v_mad_u64_u32 v[42:43], null, v34, 48, v[35:36]
	s_clause 0x1
	global_load_dwordx4 v[34:37], v[62:63], off offset:256
	global_load_dwordx4 v[38:41], v[62:63], off offset:240
	v_mov_b32_e32 v67, v42
	global_load_dwordx4 v[42:45], v[66:67], off
	global_load_dwordx4 v[46:49], v[62:63], off offset:208
	global_load_dwordx4 v[50:53], v[66:67], off offset:16
	s_clause 0x2
	global_load_dwordx4 v[54:57], v[62:63], off offset:224
	global_load_dwordx4 v[58:61], v[62:63], off offset:176
	;; [unrolled: 1-line block ×4, first 2 shown]
	s_waitcnt vmcnt(6)
	v_mul_f64 v[70:71], v[32:33], v[44:45]
	v_mul_f64 v[72:73], v[30:31], v[44:45]
	;; [unrolled: 1-line block ×6, first 2 shown]
	s_waitcnt vmcnt(4)
	v_mul_f64 v[78:79], v[28:29], v[52:53]
	v_mul_f64 v[80:81], v[26:27], v[52:53]
	v_mul_f64 v[82:83], v[52:53], v[48:49]
	v_mul_f64 v[48:49], v[50:51], v[48:49]
	v_mul_f64 v[84:85], v[52:53], v[36:37]
	v_mul_f64 v[36:37], v[50:51], v[36:37]
	v_fma_f64 v[30:31], v[30:31], v[42:43], -v[70:71]
	v_fma_f64 v[32:33], v[42:43], v[32:33], v[72:73]
	v_fma_f64 v[70:71], v[42:43], v[22:23], -v[74:75]
	v_fma_f64 v[22:23], v[44:45], v[22:23], v[24:25]
	;; [unrolled: 2-line block ×3, first 2 shown]
	s_waitcnt vmcnt(0)
	v_mul_f64 v[40:41], v[60:61], v[68:69]
	v_mul_f64 v[42:43], v[58:59], v[68:69]
	;; [unrolled: 1-line block ×6, first 2 shown]
	v_fma_f64 v[26:27], v[26:27], v[50:51], -v[78:79]
	v_fma_f64 v[28:29], v[50:51], v[28:29], v[80:81]
	v_fma_f64 v[74:75], v[50:51], v[46:47], -v[82:83]
	v_fma_f64 v[46:47], v[52:53], v[46:47], v[48:49]
	;; [unrolled: 2-line block ×3, first 2 shown]
	v_add_f64 v[30:31], v[30:31], 0
	v_add_f64 v[32:33], v[32:33], 0
	v_add_f64 v[36:37], v[70:71], 0
	v_add_f64 v[22:23], v[22:23], 0
	v_add_f64 v[24:25], v[24:25], 0
	v_add_f64 v[38:39], v[38:39], 0
	v_fma_f64 v[40:41], v[58:59], v[66:67], -v[40:41]
	v_fma_f64 v[42:43], v[66:67], v[60:61], v[42:43]
	v_fma_f64 v[44:45], v[66:67], v[54:55], -v[44:45]
	v_fma_f64 v[50:51], v[68:69], v[54:55], v[56:57]
	;; [unrolled: 2-line block ×3, first 2 shown]
	v_add_f64 v[26:27], v[30:31], v[26:27]
	v_add_f64 v[28:29], v[32:33], v[28:29]
	;; [unrolled: 1-line block ×18, first 2 shown]
	s_cbranch_scc0 .LBB1_2
; %bb.3:
	v_lshlrev_b64 v[18:19], 3, v[16:17]
	v_mad_u64_u32 v[32:33], null, 0x90, v16, s[18:19]
	v_add_co_u32 v20, vcc_lo, s0, v18
	v_add_co_ci_u32_e64 v21, null, s1, v19, vcc_lo
	v_mad_u32_u24 v33, 0x90, v17, v33
	global_load_dwordx2 v[20:21], v[20:21], off
	s_waitcnt vmcnt(0)
	v_mad_u64_u32 v[58:59], null, v20, 48, s[8:9]
	v_mov_b32_e32 v20, v59
	v_mad_u64_u32 v[20:21], null, v21, 48, v[20:21]
	v_mov_b32_e32 v59, v20
	global_load_dwordx4 v[20:23], v[32:33], off
	global_load_dwordx4 v[24:27], v[58:59], off
	s_clause 0x2
	global_load_dwordx4 v[28:31], v[32:33], off offset:48
	global_load_dwordx4 v[34:37], v[32:33], off offset:96
	;; [unrolled: 1-line block ×4, first 2 shown]
	s_clause 0x2
	global_load_dwordx4 v[46:49], v[32:33], off offset:64
	global_load_dwordx4 v[50:53], v[32:33], off offset:112
	;; [unrolled: 1-line block ×4, first 2 shown]
	s_clause 0x1
	global_load_dwordx4 v[62:65], v[32:33], off offset:80
	global_load_dwordx4 v[66:69], v[32:33], off offset:128
	global_store_dwordx4 v[12:13], v[4:7], off
	global_store_dwordx4 v[12:13], v[8:11], off offset:16
	global_store_dwordx4 v[12:13], v[0:3], off offset:32
	s_waitcnt vmcnt(10)
	v_mul_f64 v[70:71], v[22:23], v[26:27]
	v_mul_f64 v[72:73], v[20:21], v[26:27]
	s_waitcnt vmcnt(9)
	v_mul_f64 v[74:75], v[26:27], v[30:31]
	v_mul_f64 v[30:31], v[24:25], v[30:31]
	;; [unrolled: 3-line block ×6, first 2 shown]
	v_fma_f64 v[20:21], v[20:21], v[24:25], -v[70:71]
	v_fma_f64 v[22:23], v[24:25], v[22:23], v[72:73]
	v_fma_f64 v[70:71], v[24:25], v[28:29], -v[74:75]
	v_fma_f64 v[28:29], v[26:27], v[28:29], v[30:31]
	;; [unrolled: 2-line block ×3, first 2 shown]
	s_waitcnt vmcnt(2)
	v_mul_f64 v[30:31], v[56:57], v[60:61]
	v_mul_f64 v[34:35], v[54:55], v[60:61]
	s_waitcnt vmcnt(1)
	v_mul_f64 v[36:37], v[60:61], v[64:65]
	v_mul_f64 v[64:65], v[58:59], v[64:65]
	;; [unrolled: 3-line block ×3, first 2 shown]
	v_fma_f64 v[38:39], v[38:39], v[42:43], -v[78:79]
	v_fma_f64 v[40:41], v[42:43], v[40:41], v[80:81]
	v_fma_f64 v[74:75], v[42:43], v[46:47], -v[82:83]
	v_fma_f64 v[46:47], v[44:45], v[46:47], v[48:49]
	;; [unrolled: 2-line block ×3, first 2 shown]
	v_add_f64 v[20:21], v[20:21], 0
	v_add_f64 v[22:23], v[22:23], 0
	;; [unrolled: 1-line block ×6, first 2 shown]
	v_fma_f64 v[30:31], v[54:55], v[58:59], -v[30:31]
	v_fma_f64 v[34:35], v[58:59], v[56:57], v[34:35]
	v_fma_f64 v[36:37], v[58:59], v[62:63], -v[36:37]
	v_fma_f64 v[50:51], v[60:61], v[62:63], v[64:65]
	;; [unrolled: 2-line block ×3, first 2 shown]
	v_add_f64 v[20:21], v[20:21], v[38:39]
	v_add_f64 v[22:23], v[22:23], v[40:41]
	;; [unrolled: 1-line block ×12, first 2 shown]
	v_add_co_u32 v34, vcc_lo, s0, v14
	v_add_co_ci_u32_e64 v35, null, s1, v15, vcc_lo
	s_mov_b64 s[0:1], 0
.LBB1_4:                                ; =>This Inner Loop Header: Depth=1
	global_load_dwordx2 v[36:37], v[34:35], off
	v_add_co_u32 v64, vcc_lo, v32, s0
	v_add_co_ci_u32_e64 v65, null, s1, v33, vcc_lo
	v_add_co_u32 v34, vcc_lo, v34, 8
	s_add_u32 s0, s0, 0x90
	s_clause 0x2
	global_load_dwordx4 v[0:3], v[64:65], off offset:192
	global_load_dwordx4 v[4:7], v[64:65], off offset:160
	;; [unrolled: 1-line block ×3, first 2 shown]
	v_add_co_ci_u32_e64 v35, null, 0, v35, vcc_lo
	s_addc_u32 s1, s1, 0
	s_cmp_eq_u64 s[0:1], 0x1b0
	s_waitcnt vmcnt(3)
	v_mad_u64_u32 v[68:69], null, v36, 48, s[8:9]
	v_mov_b32_e32 v36, v69
	v_mad_u64_u32 v[44:45], null, v37, 48, v[36:37]
	s_clause 0x1
	global_load_dwordx4 v[36:39], v[64:65], off offset:256
	global_load_dwordx4 v[40:43], v[64:65], off offset:240
	v_mov_b32_e32 v69, v44
	global_load_dwordx4 v[44:47], v[68:69], off
	global_load_dwordx4 v[48:51], v[64:65], off offset:208
	global_load_dwordx4 v[52:55], v[68:69], off offset:16
	s_clause 0x2
	global_load_dwordx4 v[56:59], v[64:65], off offset:224
	global_load_dwordx4 v[60:63], v[64:65], off offset:176
	;; [unrolled: 1-line block ×4, first 2 shown]
	s_waitcnt vmcnt(6)
	v_mul_f64 v[72:73], v[10:11], v[46:47]
	v_mul_f64 v[74:75], v[8:9], v[46:47]
	;; [unrolled: 1-line block ×6, first 2 shown]
	s_waitcnt vmcnt(4)
	v_mul_f64 v[80:81], v[6:7], v[54:55]
	v_mul_f64 v[82:83], v[4:5], v[54:55]
	;; [unrolled: 1-line block ×6, first 2 shown]
	v_fma_f64 v[8:9], v[8:9], v[44:45], -v[72:73]
	v_fma_f64 v[10:11], v[44:45], v[10:11], v[74:75]
	v_fma_f64 v[72:73], v[44:45], v[0:1], -v[76:77]
	v_fma_f64 v[0:1], v[46:47], v[0:1], v[2:3]
	;; [unrolled: 2-line block ×3, first 2 shown]
	s_waitcnt vmcnt(0)
	v_mul_f64 v[42:43], v[62:63], v[70:71]
	v_mul_f64 v[44:45], v[60:61], v[70:71]
	;; [unrolled: 1-line block ×6, first 2 shown]
	v_fma_f64 v[4:5], v[4:5], v[52:53], -v[80:81]
	v_fma_f64 v[6:7], v[52:53], v[6:7], v[82:83]
	v_fma_f64 v[76:77], v[52:53], v[48:49], -v[84:85]
	v_fma_f64 v[48:49], v[54:55], v[48:49], v[50:51]
	;; [unrolled: 2-line block ×3, first 2 shown]
	v_add_f64 v[8:9], v[8:9], 0
	v_add_f64 v[10:11], v[10:11], 0
	;; [unrolled: 1-line block ×6, first 2 shown]
	v_fma_f64 v[42:43], v[60:61], v[68:69], -v[42:43]
	v_fma_f64 v[44:45], v[68:69], v[62:63], v[44:45]
	v_fma_f64 v[46:47], v[68:69], v[56:57], -v[46:47]
	v_fma_f64 v[52:53], v[70:71], v[56:57], v[58:59]
	;; [unrolled: 2-line block ×3, first 2 shown]
	v_add_f64 v[4:5], v[8:9], v[4:5]
	v_add_f64 v[6:7], v[10:11], v[6:7]
	;; [unrolled: 1-line block ×18, first 2 shown]
	s_cbranch_scc0 .LBB1_4
; %bb.5:
	v_add_co_u32 v0, vcc_lo, s14, v18
	v_add_co_ci_u32_e64 v1, null, s15, v19, vcc_lo
	v_mad_u64_u32 v[32:33], null, 0x90, v16, s[20:21]
	s_mov_b64 s[0:1], 0
	global_load_dwordx2 v[0:1], v[0:1], off
	v_mad_u32_u24 v33, 0x90, v17, v33
	s_waitcnt vmcnt(0)
	v_mad_u64_u32 v[58:59], null, v0, 48, s[8:9]
	v_mov_b32_e32 v0, v59
	v_mad_u64_u32 v[0:1], null, v1, 48, v[0:1]
	v_mov_b32_e32 v59, v0
	global_load_dwordx4 v[0:3], v[32:33], off
	global_load_dwordx4 v[4:7], v[58:59], off
	s_clause 0x2
	global_load_dwordx4 v[8:11], v[32:33], off offset:48
	global_load_dwordx4 v[34:37], v[32:33], off offset:96
	;; [unrolled: 1-line block ×4, first 2 shown]
	s_clause 0x2
	global_load_dwordx4 v[46:49], v[32:33], off offset:64
	global_load_dwordx4 v[50:53], v[32:33], off offset:112
	;; [unrolled: 1-line block ×4, first 2 shown]
	s_clause 0x1
	global_load_dwordx4 v[62:65], v[32:33], off offset:80
	global_load_dwordx4 v[66:69], v[32:33], off offset:128
	s_clause 0x2
	global_load_dwordx4 v[70:73], v[12:13], off
	global_load_dwordx4 v[74:77], v[12:13], off offset:16
	global_load_dwordx4 v[78:81], v[12:13], off offset:32
	s_waitcnt vmcnt(13)
	v_mul_f64 v[82:83], v[2:3], v[6:7]
	v_mul_f64 v[84:85], v[0:1], v[6:7]
	s_waitcnt vmcnt(12)
	v_mul_f64 v[86:87], v[6:7], v[10:11]
	v_mul_f64 v[10:11], v[4:5], v[10:11]
	;; [unrolled: 3-line block ×6, first 2 shown]
	v_fma_f64 v[0:1], v[0:1], v[4:5], -v[82:83]
	v_fma_f64 v[2:3], v[4:5], v[2:3], v[84:85]
	v_fma_f64 v[82:83], v[4:5], v[8:9], -v[86:87]
	v_fma_f64 v[8:9], v[6:7], v[8:9], v[10:11]
	;; [unrolled: 2-line block ×3, first 2 shown]
	s_waitcnt vmcnt(5)
	v_mul_f64 v[10:11], v[56:57], v[60:61]
	v_mul_f64 v[34:35], v[54:55], v[60:61]
	s_waitcnt vmcnt(4)
	v_mul_f64 v[36:37], v[60:61], v[64:65]
	v_mul_f64 v[64:65], v[58:59], v[64:65]
	;; [unrolled: 3-line block ×3, first 2 shown]
	v_fma_f64 v[38:39], v[38:39], v[42:43], -v[90:91]
	v_fma_f64 v[40:41], v[42:43], v[40:41], v[92:93]
	v_fma_f64 v[86:87], v[42:43], v[46:47], -v[94:95]
	v_fma_f64 v[46:47], v[44:45], v[46:47], v[48:49]
	;; [unrolled: 2-line block ×3, first 2 shown]
	v_add_f64 v[0:1], v[0:1], 0
	v_add_f64 v[2:3], v[2:3], 0
	;; [unrolled: 1-line block ×6, first 2 shown]
	v_fma_f64 v[50:51], v[54:55], v[58:59], -v[10:11]
	v_fma_f64 v[34:35], v[58:59], v[56:57], v[34:35]
	v_fma_f64 v[36:37], v[58:59], v[62:63], -v[36:37]
	v_fma_f64 v[52:53], v[60:61], v[62:63], v[64:65]
	;; [unrolled: 2-line block ×3, first 2 shown]
	s_waitcnt vmcnt(2)
	v_add_f64 v[10:11], v[22:23], v[72:73]
	v_add_f64 v[38:39], v[0:1], v[38:39]
	;; [unrolled: 1-line block ×8, first 2 shown]
	s_waitcnt vmcnt(1)
	v_add_f64 v[4:5], v[24:25], v[74:75]
	v_add_f64 v[6:7], v[26:27], v[76:77]
	s_waitcnt vmcnt(0)
	v_add_f64 v[0:1], v[28:29], v[78:79]
	v_add_f64 v[2:3], v[30:31], v[80:81]
	global_store_dwordx4 v[12:13], v[8:11], off
	global_store_dwordx4 v[12:13], v[4:7], off offset:16
	v_add_f64 v[20:21], v[38:39], v[50:51]
	v_add_f64 v[22:23], v[40:41], v[34:35]
	;; [unrolled: 1-line block ×6, first 2 shown]
	v_add_co_u32 v34, vcc_lo, s14, v14
	v_add_co_ci_u32_e64 v35, null, s15, v15, vcc_lo
	global_store_dwordx4 v[12:13], v[0:3], off offset:32
.LBB1_6:                                ; =>This Inner Loop Header: Depth=1
	global_load_dwordx2 v[39:40], v[34:35], off
	v_add_co_u32 v76, vcc_lo, v32, s0
	v_add_co_ci_u32_e64 v77, null, s1, v33, vcc_lo
	v_add_co_u32 v34, vcc_lo, v34, 8
	s_add_u32 s0, s0, 0x90
	v_add_co_ci_u32_e64 v35, null, 0, v35, vcc_lo
	s_addc_u32 s1, s1, 0
	s_cmp_eq_u64 s[0:1], 0x1b0
	s_waitcnt vmcnt(0)
	v_mad_u64_u32 v[80:81], null, v39, 48, s[8:9]
	global_load_dwordx4 v[36:39], v[76:77], off offset:192
	v_mov_b32_e32 v41, v81
	v_mad_u64_u32 v[48:49], null, v40, 48, v[41:42]
	s_clause 0x1
	global_load_dwordx4 v[40:43], v[76:77], off offset:144
	global_load_dwordx4 v[44:47], v[76:77], off offset:240
	v_mov_b32_e32 v81, v48
	global_load_dwordx4 v[48:51], v[80:81], off
	s_clause 0x2
	global_load_dwordx4 v[52:55], v[76:77], off offset:160
	global_load_dwordx4 v[56:59], v[76:77], off offset:256
	;; [unrolled: 1-line block ×4, first 2 shown]
	s_clause 0x2
	global_load_dwordx4 v[68:71], v[76:77], off offset:224
	global_load_dwordx4 v[72:75], v[76:77], off offset:176
	global_load_dwordx4 v[76:79], v[76:77], off offset:272
	global_load_dwordx4 v[80:83], v[80:81], off offset:32
	s_waitcnt vmcnt(8)
	v_mul_f64 v[84:85], v[42:43], v[50:51]
	v_mul_f64 v[86:87], v[40:41], v[50:51]
	;; [unrolled: 1-line block ×6, first 2 shown]
	s_waitcnt vmcnt(4)
	v_mul_f64 v[92:93], v[54:55], v[66:67]
	v_mul_f64 v[94:95], v[52:53], v[66:67]
	;; [unrolled: 1-line block ×6, first 2 shown]
	v_fma_f64 v[40:41], v[40:41], v[48:49], -v[84:85]
	v_fma_f64 v[42:43], v[48:49], v[42:43], v[86:87]
	v_fma_f64 v[84:85], v[48:49], v[36:37], -v[88:89]
	v_fma_f64 v[36:37], v[50:51], v[36:37], v[38:39]
	;; [unrolled: 2-line block ×3, first 2 shown]
	s_waitcnt vmcnt(0)
	v_mul_f64 v[46:47], v[74:75], v[82:83]
	v_mul_f64 v[48:49], v[72:73], v[82:83]
	;; [unrolled: 1-line block ×6, first 2 shown]
	v_fma_f64 v[52:53], v[52:53], v[64:65], -v[92:93]
	v_fma_f64 v[54:55], v[64:65], v[54:55], v[94:95]
	v_fma_f64 v[88:89], v[64:65], v[60:61], -v[96:97]
	v_fma_f64 v[60:61], v[66:67], v[60:61], v[62:63]
	;; [unrolled: 2-line block ×3, first 2 shown]
	v_add_f64 v[40:41], v[40:41], 0
	v_add_f64 v[42:43], v[42:43], 0
	v_add_f64 v[58:59], v[84:85], 0
	v_add_f64 v[36:37], v[36:37], 0
	v_add_f64 v[38:39], v[38:39], 0
	v_add_f64 v[44:45], v[44:45], 0
	v_fma_f64 v[46:47], v[72:73], v[80:81], -v[46:47]
	v_fma_f64 v[48:49], v[80:81], v[74:75], v[48:49]
	v_fma_f64 v[50:51], v[80:81], v[68:69], -v[50:51]
	v_fma_f64 v[64:65], v[82:83], v[68:69], v[70:71]
	;; [unrolled: 2-line block ×3, first 2 shown]
	v_add_f64 v[40:41], v[40:41], v[52:53]
	v_add_f64 v[42:43], v[42:43], v[54:55]
	;; [unrolled: 1-line block ×18, first 2 shown]
	s_cbranch_scc0 .LBB1_6
; %bb.7:
	v_add_co_u32 v18, vcc_lo, s2, v18
	v_add_co_ci_u32_e64 v19, null, s3, v19, vcc_lo
	v_add_co_u32 v14, vcc_lo, s2, v14
	v_add_co_ci_u32_e64 v15, null, s3, v15, vcc_lo
	global_load_dwordx2 v[32:33], v[18:19], off
	v_mad_u64_u32 v[18:19], null, 0x90, v16, s[22:23]
	s_mov_b64 s[0:1], 0
	v_mad_u32_u24 v19, 0x90, v17, v19
	s_waitcnt vmcnt(0)
	v_mad_u64_u32 v[68:69], null, v32, 48, s[8:9]
	v_mov_b32_e32 v32, v69
	v_mad_u64_u32 v[32:33], null, v33, 48, v[32:33]
	v_mov_b32_e32 v69, v32
	global_load_dwordx4 v[32:35], v[18:19], off
	global_load_dwordx4 v[36:39], v[68:69], off
	s_clause 0x2
	global_load_dwordx4 v[40:43], v[18:19], off offset:48
	global_load_dwordx4 v[44:47], v[18:19], off offset:96
	;; [unrolled: 1-line block ×4, first 2 shown]
	s_clause 0x2
	global_load_dwordx4 v[56:59], v[18:19], off offset:64
	global_load_dwordx4 v[60:63], v[18:19], off offset:112
	;; [unrolled: 1-line block ×4, first 2 shown]
	s_clause 0x1
	global_load_dwordx4 v[72:75], v[18:19], off offset:80
	global_load_dwordx4 v[76:79], v[18:19], off offset:128
	s_waitcnt vmcnt(10)
	v_mul_f64 v[16:17], v[34:35], v[38:39]
	v_mul_f64 v[80:81], v[32:33], v[38:39]
	s_waitcnt vmcnt(9)
	v_mul_f64 v[82:83], v[38:39], v[42:43]
	v_mul_f64 v[42:43], v[36:37], v[42:43]
	;; [unrolled: 3-line block ×6, first 2 shown]
	v_fma_f64 v[16:17], v[32:33], v[36:37], -v[16:17]
	v_fma_f64 v[32:33], v[36:37], v[34:35], v[80:81]
	v_fma_f64 v[34:35], v[36:37], v[40:41], -v[82:83]
	v_fma_f64 v[40:41], v[38:39], v[40:41], v[42:43]
	;; [unrolled: 2-line block ×3, first 2 shown]
	s_waitcnt vmcnt(2)
	v_mul_f64 v[42:43], v[66:67], v[70:71]
	v_mul_f64 v[44:45], v[64:65], v[70:71]
	s_waitcnt vmcnt(1)
	v_mul_f64 v[46:47], v[70:71], v[74:75]
	v_mul_f64 v[74:75], v[68:69], v[74:75]
	s_waitcnt vmcnt(0)
	v_mul_f64 v[80:81], v[70:71], v[78:79]
	v_mul_f64 v[78:79], v[68:69], v[78:79]
	v_fma_f64 v[48:49], v[48:49], v[52:53], -v[86:87]
	v_fma_f64 v[50:51], v[52:53], v[50:51], v[88:89]
	v_fma_f64 v[82:83], v[52:53], v[56:57], -v[90:91]
	v_fma_f64 v[56:57], v[54:55], v[56:57], v[58:59]
	;; [unrolled: 2-line block ×3, first 2 shown]
	v_add_f64 v[16:17], v[16:17], 0
	v_add_f64 v[32:33], v[32:33], 0
	;; [unrolled: 1-line block ×6, first 2 shown]
	v_fma_f64 v[42:43], v[64:65], v[68:69], -v[42:43]
	v_fma_f64 v[44:45], v[68:69], v[66:67], v[44:45]
	v_fma_f64 v[46:47], v[68:69], v[72:73], -v[46:47]
	v_fma_f64 v[58:59], v[70:71], v[72:73], v[74:75]
	;; [unrolled: 2-line block ×3, first 2 shown]
	v_add_f64 v[16:17], v[16:17], v[48:49]
	v_add_f64 v[32:33], v[32:33], v[50:51]
	;; [unrolled: 1-line block ×12, first 2 shown]
.LBB1_8:                                ; =>This Inner Loop Header: Depth=1
	global_load_dwordx2 v[53:54], v[14:15], off
	v_add_co_u32 v82, vcc_lo, v18, s0
	v_add_co_ci_u32_e64 v83, null, s1, v19, vcc_lo
	v_add_co_u32 v14, vcc_lo, v14, 8
	s_add_u32 s0, s0, 0x90
	global_load_dwordx4 v[42:45], v[82:83], off offset:192
	v_add_co_ci_u32_e64 v15, null, 0, v15, vcc_lo
	s_addc_u32 s1, s1, 0
	s_cmp_eq_u64 s[0:1], 0x1b0
	s_waitcnt vmcnt(1)
	v_mad_u64_u32 v[86:87], null, v53, 48, s[8:9]
	s_clause 0x1
	global_load_dwordx4 v[46:49], v[82:83], off offset:160
	global_load_dwordx4 v[50:53], v[82:83], off offset:144
	v_mov_b32_e32 v55, v87
	v_mad_u64_u32 v[62:63], null, v54, 48, v[55:56]
	s_clause 0x1
	global_load_dwordx4 v[54:57], v[82:83], off offset:256
	global_load_dwordx4 v[58:61], v[82:83], off offset:240
	v_mov_b32_e32 v87, v62
	s_clause 0x1
	global_load_dwordx4 v[62:65], v[86:87], off
	global_load_dwordx4 v[66:69], v[86:87], off offset:16
	s_clause 0x3
	global_load_dwordx4 v[70:73], v[82:83], off offset:208
	global_load_dwordx4 v[74:77], v[82:83], off offset:224
	;; [unrolled: 1-line block ×5, first 2 shown]
	s_waitcnt vmcnt(6)
	v_mul_f64 v[90:91], v[52:53], v[64:65]
	v_mul_f64 v[92:93], v[50:51], v[64:65]
	;; [unrolled: 1-line block ×6, first 2 shown]
	s_waitcnt vmcnt(5)
	v_mul_f64 v[98:99], v[48:49], v[68:69]
	v_mul_f64 v[100:101], v[46:47], v[68:69]
	s_waitcnt vmcnt(4)
	v_mul_f64 v[102:103], v[68:69], v[72:73]
	v_mul_f64 v[72:73], v[66:67], v[72:73]
	;; [unrolled: 1-line block ×4, first 2 shown]
	v_fma_f64 v[50:51], v[50:51], v[62:63], -v[90:91]
	v_fma_f64 v[52:53], v[62:63], v[52:53], v[92:93]
	v_fma_f64 v[90:91], v[62:63], v[42:43], -v[94:95]
	v_fma_f64 v[42:43], v[64:65], v[42:43], v[44:45]
	v_fma_f64 v[44:45], v[62:63], v[58:59], -v[96:97]
	v_fma_f64 v[58:59], v[64:65], v[58:59], v[60:61]
	s_waitcnt vmcnt(0)
	v_mul_f64 v[60:61], v[80:81], v[88:89]
	v_mul_f64 v[62:63], v[78:79], v[88:89]
	;; [unrolled: 1-line block ×6, first 2 shown]
	v_fma_f64 v[46:47], v[46:47], v[66:67], -v[98:99]
	v_fma_f64 v[48:49], v[66:67], v[48:49], v[100:101]
	v_fma_f64 v[94:95], v[66:67], v[70:71], -v[102:103]
	v_fma_f64 v[70:71], v[68:69], v[70:71], v[72:73]
	;; [unrolled: 2-line block ×3, first 2 shown]
	v_add_f64 v[50:51], v[50:51], 0
	v_add_f64 v[52:53], v[52:53], 0
	;; [unrolled: 1-line block ×6, first 2 shown]
	v_fma_f64 v[60:61], v[78:79], v[86:87], -v[60:61]
	v_fma_f64 v[62:63], v[86:87], v[80:81], v[62:63]
	v_fma_f64 v[64:65], v[86:87], v[74:75], -v[64:65]
	v_fma_f64 v[68:69], v[88:89], v[74:75], v[76:77]
	;; [unrolled: 2-line block ×3, first 2 shown]
	v_add_f64 v[46:47], v[50:51], v[46:47]
	v_add_f64 v[48:49], v[52:53], v[48:49]
	;; [unrolled: 1-line block ×18, first 2 shown]
	s_cbranch_scc0 .LBB1_8
; %bb.9:
	v_add_f64 v[8:9], v[8:9], -v[20:21]
	v_add_f64 v[10:11], v[10:11], -v[22:23]
	;; [unrolled: 1-line block ×12, first 2 shown]
	global_store_dwordx4 v[12:13], v[0:3], off
	global_store_dwordx4 v[12:13], v[4:7], off offset:16
	global_store_dwordx4 v[12:13], v[8:11], off offset:32
.LBB1_10:
	s_endpgm
	.section	.rodata,"a",@progbits
	.p2align	6, 0x0
	.amdhsa_kernel _Z6dslashPK11dsu3_matrixS1_S1_S1_PK11dsu3_vectorPS2_PKmS7_S7_S7_i
		.amdhsa_group_segment_fixed_size 0
		.amdhsa_private_segment_fixed_size 0
		.amdhsa_kernarg_size 344
		.amdhsa_user_sgpr_count 6
		.amdhsa_user_sgpr_private_segment_buffer 1
		.amdhsa_user_sgpr_dispatch_ptr 0
		.amdhsa_user_sgpr_queue_ptr 0
		.amdhsa_user_sgpr_kernarg_segment_ptr 1
		.amdhsa_user_sgpr_dispatch_id 0
		.amdhsa_user_sgpr_flat_scratch_init 0
		.amdhsa_user_sgpr_private_segment_size 0
		.amdhsa_wavefront_size32 1
		.amdhsa_uses_dynamic_stack 0
		.amdhsa_system_sgpr_private_segment_wavefront_offset 0
		.amdhsa_system_sgpr_workgroup_id_x 1
		.amdhsa_system_sgpr_workgroup_id_y 0
		.amdhsa_system_sgpr_workgroup_id_z 0
		.amdhsa_system_sgpr_workgroup_info 0
		.amdhsa_system_vgpr_workitem_id 0
		.amdhsa_next_free_vgpr 106
		.amdhsa_next_free_sgpr 24
		.amdhsa_reserve_vcc 1
		.amdhsa_reserve_flat_scratch 0
		.amdhsa_float_round_mode_32 0
		.amdhsa_float_round_mode_16_64 0
		.amdhsa_float_denorm_mode_32 3
		.amdhsa_float_denorm_mode_16_64 3
		.amdhsa_dx10_clamp 1
		.amdhsa_ieee_mode 1
		.amdhsa_fp16_overflow 0
		.amdhsa_workgroup_processor_mode 1
		.amdhsa_memory_ordered 1
		.amdhsa_forward_progress 1
		.amdhsa_shared_vgpr_count 0
		.amdhsa_exception_fp_ieee_invalid_op 0
		.amdhsa_exception_fp_denorm_src 0
		.amdhsa_exception_fp_ieee_div_zero 0
		.amdhsa_exception_fp_ieee_overflow 0
		.amdhsa_exception_fp_ieee_underflow 0
		.amdhsa_exception_fp_ieee_inexact 0
		.amdhsa_exception_int_div_zero 0
	.end_amdhsa_kernel
	.text
.Lfunc_end1:
	.size	_Z6dslashPK11dsu3_matrixS1_S1_S1_PK11dsu3_vectorPS2_PKmS7_S7_S7_i, .Lfunc_end1-_Z6dslashPK11dsu3_matrixS1_S1_S1_PK11dsu3_vectorPS2_PKmS7_S7_S7_i
                                        ; -- End function
	.set _Z6dslashPK11dsu3_matrixS1_S1_S1_PK11dsu3_vectorPS2_PKmS7_S7_S7_i.num_vgpr, 106
	.set _Z6dslashPK11dsu3_matrixS1_S1_S1_PK11dsu3_vectorPS2_PKmS7_S7_S7_i.num_agpr, 0
	.set _Z6dslashPK11dsu3_matrixS1_S1_S1_PK11dsu3_vectorPS2_PKmS7_S7_S7_i.numbered_sgpr, 24
	.set _Z6dslashPK11dsu3_matrixS1_S1_S1_PK11dsu3_vectorPS2_PKmS7_S7_S7_i.num_named_barrier, 0
	.set _Z6dslashPK11dsu3_matrixS1_S1_S1_PK11dsu3_vectorPS2_PKmS7_S7_S7_i.private_seg_size, 0
	.set _Z6dslashPK11dsu3_matrixS1_S1_S1_PK11dsu3_vectorPS2_PKmS7_S7_S7_i.uses_vcc, 1
	.set _Z6dslashPK11dsu3_matrixS1_S1_S1_PK11dsu3_vectorPS2_PKmS7_S7_S7_i.uses_flat_scratch, 0
	.set _Z6dslashPK11dsu3_matrixS1_S1_S1_PK11dsu3_vectorPS2_PKmS7_S7_S7_i.has_dyn_sized_stack, 0
	.set _Z6dslashPK11dsu3_matrixS1_S1_S1_PK11dsu3_vectorPS2_PKmS7_S7_S7_i.has_recursion, 0
	.set _Z6dslashPK11dsu3_matrixS1_S1_S1_PK11dsu3_vectorPS2_PKmS7_S7_S7_i.has_indirect_call, 0
	.section	.AMDGPU.csdata,"",@progbits
; Kernel info:
; codeLenInByte = 5860
; TotalNumSgprs: 26
; NumVgprs: 106
; ScratchSize: 0
; MemoryBound: 0
; FloatMode: 240
; IeeeMode: 1
; LDSByteSize: 0 bytes/workgroup (compile time only)
; SGPRBlocks: 0
; VGPRBlocks: 13
; NumSGPRsForWavesPerEU: 26
; NumVGPRsForWavesPerEU: 106
; Occupancy: 9
; WaveLimiterHint : 1
; COMPUTE_PGM_RSRC2:SCRATCH_EN: 0
; COMPUTE_PGM_RSRC2:USER_SGPR: 6
; COMPUTE_PGM_RSRC2:TRAP_HANDLER: 0
; COMPUTE_PGM_RSRC2:TGID_X_EN: 1
; COMPUTE_PGM_RSRC2:TGID_Y_EN: 0
; COMPUTE_PGM_RSRC2:TGID_Z_EN: 0
; COMPUTE_PGM_RSRC2:TIDIG_COMP_CNT: 0
	.text
	.p2alignl 6, 3214868480
	.fill 48, 4, 3214868480
	.section	.AMDGPU.gpr_maximums,"",@progbits
	.set amdgpu.max_num_vgpr, 0
	.set amdgpu.max_num_agpr, 0
	.set amdgpu.max_num_sgpr, 0
	.text
	.type	__hip_cuid_583e731aa6fafb1c,@object ; @__hip_cuid_583e731aa6fafb1c
	.section	.bss,"aw",@nobits
	.globl	__hip_cuid_583e731aa6fafb1c
__hip_cuid_583e731aa6fafb1c:
	.byte	0                               ; 0x0
	.size	__hip_cuid_583e731aa6fafb1c, 1

	.ident	"AMD clang version 22.0.0git (https://github.com/RadeonOpenCompute/llvm-project roc-7.2.4 26084 f58b06dce1f9c15707c5f808fd002e18c2accf7e)"
	.section	".note.GNU-stack","",@progbits
	.addrsig
	.addrsig_sym __hip_cuid_583e731aa6fafb1c
	.amdgpu_metadata
---
amdhsa.kernels:
  - .args:
      - .actual_access:  read_only
        .address_space:  global
        .offset:         0
        .size:           8
        .value_kind:     global_buffer
      - .actual_access:  read_only
        .address_space:  global
        .offset:         8
        .size:           8
        .value_kind:     global_buffer
      - .actual_access:  read_only
        .address_space:  global
        .offset:         16
        .size:           8
        .value_kind:     global_buffer
      - .actual_access:  read_only
        .address_space:  global
        .offset:         24
        .size:           8
        .value_kind:     global_buffer
      - .actual_access:  write_only
        .address_space:  global
        .offset:         32
        .size:           8
        .value_kind:     global_buffer
      - .actual_access:  write_only
        .address_space:  global
        .offset:         40
        .size:           8
        .value_kind:     global_buffer
      - .offset:         48
        .size:           4
        .value_kind:     by_value
      - .offset:         56
        .size:           4
        .value_kind:     hidden_block_count_x
      - .offset:         60
        .size:           4
        .value_kind:     hidden_block_count_y
      - .offset:         64
        .size:           4
        .value_kind:     hidden_block_count_z
      - .offset:         68
        .size:           2
        .value_kind:     hidden_group_size_x
      - .offset:         70
        .size:           2
        .value_kind:     hidden_group_size_y
      - .offset:         72
        .size:           2
        .value_kind:     hidden_group_size_z
      - .offset:         74
        .size:           2
        .value_kind:     hidden_remainder_x
      - .offset:         76
        .size:           2
        .value_kind:     hidden_remainder_y
      - .offset:         78
        .size:           2
        .value_kind:     hidden_remainder_z
      - .offset:         96
        .size:           8
        .value_kind:     hidden_global_offset_x
      - .offset:         104
        .size:           8
        .value_kind:     hidden_global_offset_y
      - .offset:         112
        .size:           8
        .value_kind:     hidden_global_offset_z
      - .offset:         120
        .size:           2
        .value_kind:     hidden_grid_dims
    .group_segment_fixed_size: 0
    .kernarg_segment_align: 8
    .kernarg_segment_size: 312
    .language:       OpenCL C
    .language_version:
      - 2
      - 0
    .max_flat_workgroup_size: 1024
    .name:           _Z9make_backPK11dsu3_matrixS1_PKmS3_PS_S4_i
    .private_segment_fixed_size: 0
    .sgpr_count:     14
    .sgpr_spill_count: 0
    .symbol:         _Z9make_backPK11dsu3_matrixS1_PKmS3_PS_S4_i.kd
    .uniform_work_group_size: 1
    .uses_dynamic_stack: false
    .vgpr_count:     60
    .vgpr_spill_count: 0
    .wavefront_size: 32
    .workgroup_processor_mode: 1
  - .args:
      - .actual_access:  read_only
        .address_space:  global
        .offset:         0
        .size:           8
        .value_kind:     global_buffer
      - .actual_access:  read_only
        .address_space:  global
        .offset:         8
        .size:           8
        .value_kind:     global_buffer
      - .actual_access:  read_only
        .address_space:  global
        .offset:         16
        .size:           8
        .value_kind:     global_buffer
      - .actual_access:  read_only
        .address_space:  global
        .offset:         24
        .size:           8
        .value_kind:     global_buffer
      - .actual_access:  read_only
        .address_space:  global
        .offset:         32
        .size:           8
        .value_kind:     global_buffer
      - .address_space:  global
        .offset:         40
        .size:           8
        .value_kind:     global_buffer
      - .actual_access:  read_only
        .address_space:  global
        .offset:         48
        .size:           8
        .value_kind:     global_buffer
      - .actual_access:  read_only
        .address_space:  global
        .offset:         56
        .size:           8
        .value_kind:     global_buffer
      - .actual_access:  read_only
        .address_space:  global
        .offset:         64
        .size:           8
        .value_kind:     global_buffer
      - .actual_access:  read_only
        .address_space:  global
        .offset:         72
        .size:           8
        .value_kind:     global_buffer
      - .offset:         80
        .size:           4
        .value_kind:     by_value
      - .offset:         88
        .size:           4
        .value_kind:     hidden_block_count_x
      - .offset:         92
        .size:           4
        .value_kind:     hidden_block_count_y
      - .offset:         96
        .size:           4
        .value_kind:     hidden_block_count_z
      - .offset:         100
        .size:           2
        .value_kind:     hidden_group_size_x
      - .offset:         102
        .size:           2
        .value_kind:     hidden_group_size_y
      - .offset:         104
        .size:           2
        .value_kind:     hidden_group_size_z
      - .offset:         106
        .size:           2
        .value_kind:     hidden_remainder_x
      - .offset:         108
        .size:           2
        .value_kind:     hidden_remainder_y
      - .offset:         110
        .size:           2
        .value_kind:     hidden_remainder_z
      - .offset:         128
        .size:           8
        .value_kind:     hidden_global_offset_x
      - .offset:         136
        .size:           8
        .value_kind:     hidden_global_offset_y
      - .offset:         144
        .size:           8
        .value_kind:     hidden_global_offset_z
      - .offset:         152
        .size:           2
        .value_kind:     hidden_grid_dims
    .group_segment_fixed_size: 0
    .kernarg_segment_align: 8
    .kernarg_segment_size: 344
    .language:       OpenCL C
    .language_version:
      - 2
      - 0
    .max_flat_workgroup_size: 1024
    .name:           _Z6dslashPK11dsu3_matrixS1_S1_S1_PK11dsu3_vectorPS2_PKmS7_S7_S7_i
    .private_segment_fixed_size: 0
    .sgpr_count:     26
    .sgpr_spill_count: 0
    .symbol:         _Z6dslashPK11dsu3_matrixS1_S1_S1_PK11dsu3_vectorPS2_PKmS7_S7_S7_i.kd
    .uniform_work_group_size: 1
    .uses_dynamic_stack: false
    .vgpr_count:     106
    .vgpr_spill_count: 0
    .wavefront_size: 32
    .workgroup_processor_mode: 1
amdhsa.target:   amdgcn-amd-amdhsa--gfx1030
amdhsa.version:
  - 1
  - 2
...

	.end_amdgpu_metadata
